;; amdgpu-corpus repo=ROCm/rocFFT kind=compiled arch=gfx1100 opt=O3
	.text
	.amdgcn_target "amdgcn-amd-amdhsa--gfx1100"
	.amdhsa_code_object_version 6
	.protected	fft_rtc_back_len343_factors_7_7_7_wgs_245_tpt_49_halfLds_dp_op_CI_CI_sbrr_dirReg ; -- Begin function fft_rtc_back_len343_factors_7_7_7_wgs_245_tpt_49_halfLds_dp_op_CI_CI_sbrr_dirReg
	.globl	fft_rtc_back_len343_factors_7_7_7_wgs_245_tpt_49_halfLds_dp_op_CI_CI_sbrr_dirReg
	.p2align	8
	.type	fft_rtc_back_len343_factors_7_7_7_wgs_245_tpt_49_halfLds_dp_op_CI_CI_sbrr_dirReg,@function
fft_rtc_back_len343_factors_7_7_7_wgs_245_tpt_49_halfLds_dp_op_CI_CI_sbrr_dirReg: ; @fft_rtc_back_len343_factors_7_7_7_wgs_245_tpt_49_halfLds_dp_op_CI_CI_sbrr_dirReg
; %bb.0:
	s_clause 0x1
	s_load_b128 s[16:19], s[0:1], 0x18
	s_load_b128 s[8:11], s[0:1], 0x0
	v_mul_u32_u24_e32 v1, 0x53a, v0
	v_mov_b32_e32 v4, 0
	s_load_b128 s[4:7], s[0:1], 0x58
	s_waitcnt lgkmcnt(0)
	s_load_b64 s[20:21], s[16:17], 0x0
	s_load_b64 s[12:13], s[18:19], 0x0
	v_lshrrev_b32_e32 v2, 16, v1
	v_mov_b32_e32 v1, 0
	v_cmp_lt_u64_e64 s2, s[10:11], 2
	s_delay_alu instid0(VALU_DEP_3) | instskip(NEXT) | instid1(VALU_DEP_3)
	v_mad_u64_u32 v[32:33], null, s15, 5, v[2:3]
	v_mov_b32_e32 v33, v1
	v_mov_b32_e32 v5, 0
	s_delay_alu instid0(VALU_DEP_4) | instskip(NEXT) | instid1(VALU_DEP_1)
	s_and_b32 vcc_lo, exec_lo, s2
	v_dual_mov_b32 v30, v32 :: v_dual_mov_b32 v29, v5
	s_delay_alu instid0(VALU_DEP_3)
	v_dual_mov_b32 v28, v4 :: v_dual_mov_b32 v31, v33
	s_cbranch_vccnz .LBB0_8
; %bb.1:
	s_load_b64 s[2:3], s[0:1], 0x10
	v_mov_b32_e32 v4, 0
	v_dual_mov_b32 v5, 0 :: v_dual_mov_b32 v6, v32
	s_add_u32 s14, s18, 8
	s_addc_u32 s15, s19, 0
	v_mov_b32_e32 v7, v33
	s_add_u32 s22, s16, 8
	v_dual_mov_b32 v29, v5 :: v_dual_mov_b32 v28, v4
	s_addc_u32 s23, s17, 0
	s_mov_b64 s[26:27], 1
	s_waitcnt lgkmcnt(0)
	s_add_u32 s24, s2, 8
	s_addc_u32 s25, s3, 0
.LBB0_2:                                ; =>This Inner Loop Header: Depth=1
	s_load_b64 s[28:29], s[24:25], 0x0
                                        ; implicit-def: $vgpr30_vgpr31
	s_mov_b32 s2, exec_lo
	s_waitcnt lgkmcnt(0)
	v_or_b32_e32 v2, s29, v7
	s_delay_alu instid0(VALU_DEP_1)
	v_cmpx_ne_u64_e32 0, v[1:2]
	s_xor_b32 s3, exec_lo, s2
	s_cbranch_execz .LBB0_4
; %bb.3:                                ;   in Loop: Header=BB0_2 Depth=1
	v_cvt_f32_u32_e32 v2, s28
	v_cvt_f32_u32_e32 v3, s29
	s_sub_u32 s2, 0, s28
	s_subb_u32 s30, 0, s29
	s_delay_alu instid0(VALU_DEP_1) | instskip(NEXT) | instid1(VALU_DEP_1)
	v_fmac_f32_e32 v2, 0x4f800000, v3
	v_rcp_f32_e32 v2, v2
	s_waitcnt_depctr 0xfff
	v_mul_f32_e32 v2, 0x5f7ffffc, v2
	s_delay_alu instid0(VALU_DEP_1) | instskip(NEXT) | instid1(VALU_DEP_1)
	v_mul_f32_e32 v3, 0x2f800000, v2
	v_trunc_f32_e32 v3, v3
	s_delay_alu instid0(VALU_DEP_1) | instskip(SKIP_1) | instid1(VALU_DEP_2)
	v_fmac_f32_e32 v2, 0xcf800000, v3
	v_cvt_u32_f32_e32 v3, v3
	v_cvt_u32_f32_e32 v2, v2
	s_delay_alu instid0(VALU_DEP_2) | instskip(NEXT) | instid1(VALU_DEP_2)
	v_mul_lo_u32 v8, s2, v3
	v_mul_hi_u32 v9, s2, v2
	v_mul_lo_u32 v10, s30, v2
	s_delay_alu instid0(VALU_DEP_2) | instskip(SKIP_1) | instid1(VALU_DEP_2)
	v_add_nc_u32_e32 v8, v9, v8
	v_mul_lo_u32 v9, s2, v2
	v_add_nc_u32_e32 v8, v8, v10
	s_delay_alu instid0(VALU_DEP_2) | instskip(NEXT) | instid1(VALU_DEP_2)
	v_mul_hi_u32 v10, v2, v9
	v_mul_lo_u32 v11, v2, v8
	v_mul_hi_u32 v12, v2, v8
	v_mul_hi_u32 v13, v3, v9
	v_mul_lo_u32 v9, v3, v9
	v_mul_hi_u32 v14, v3, v8
	v_mul_lo_u32 v8, v3, v8
	v_add_co_u32 v10, vcc_lo, v10, v11
	v_add_co_ci_u32_e32 v11, vcc_lo, 0, v12, vcc_lo
	s_delay_alu instid0(VALU_DEP_2) | instskip(NEXT) | instid1(VALU_DEP_2)
	v_add_co_u32 v9, vcc_lo, v10, v9
	v_add_co_ci_u32_e32 v9, vcc_lo, v11, v13, vcc_lo
	v_add_co_ci_u32_e32 v10, vcc_lo, 0, v14, vcc_lo
	s_delay_alu instid0(VALU_DEP_2) | instskip(NEXT) | instid1(VALU_DEP_2)
	v_add_co_u32 v8, vcc_lo, v9, v8
	v_add_co_ci_u32_e32 v9, vcc_lo, 0, v10, vcc_lo
	s_delay_alu instid0(VALU_DEP_2) | instskip(NEXT) | instid1(VALU_DEP_2)
	v_add_co_u32 v2, vcc_lo, v2, v8
	v_add_co_ci_u32_e32 v3, vcc_lo, v3, v9, vcc_lo
	s_delay_alu instid0(VALU_DEP_2) | instskip(SKIP_1) | instid1(VALU_DEP_3)
	v_mul_hi_u32 v8, s2, v2
	v_mul_lo_u32 v10, s30, v2
	v_mul_lo_u32 v9, s2, v3
	s_delay_alu instid0(VALU_DEP_1) | instskip(SKIP_1) | instid1(VALU_DEP_2)
	v_add_nc_u32_e32 v8, v8, v9
	v_mul_lo_u32 v9, s2, v2
	v_add_nc_u32_e32 v8, v8, v10
	s_delay_alu instid0(VALU_DEP_2) | instskip(NEXT) | instid1(VALU_DEP_2)
	v_mul_hi_u32 v10, v2, v9
	v_mul_lo_u32 v11, v2, v8
	v_mul_hi_u32 v12, v2, v8
	v_mul_hi_u32 v13, v3, v9
	v_mul_lo_u32 v9, v3, v9
	v_mul_hi_u32 v14, v3, v8
	v_mul_lo_u32 v8, v3, v8
	v_add_co_u32 v10, vcc_lo, v10, v11
	v_add_co_ci_u32_e32 v11, vcc_lo, 0, v12, vcc_lo
	s_delay_alu instid0(VALU_DEP_2) | instskip(NEXT) | instid1(VALU_DEP_2)
	v_add_co_u32 v9, vcc_lo, v10, v9
	v_add_co_ci_u32_e32 v9, vcc_lo, v11, v13, vcc_lo
	v_add_co_ci_u32_e32 v10, vcc_lo, 0, v14, vcc_lo
	s_delay_alu instid0(VALU_DEP_2) | instskip(NEXT) | instid1(VALU_DEP_2)
	v_add_co_u32 v8, vcc_lo, v9, v8
	v_add_co_ci_u32_e32 v9, vcc_lo, 0, v10, vcc_lo
	s_delay_alu instid0(VALU_DEP_2) | instskip(NEXT) | instid1(VALU_DEP_2)
	v_add_co_u32 v10, vcc_lo, v2, v8
	v_add_co_ci_u32_e32 v12, vcc_lo, v3, v9, vcc_lo
	s_delay_alu instid0(VALU_DEP_2) | instskip(SKIP_1) | instid1(VALU_DEP_3)
	v_mul_hi_u32 v13, v6, v10
	v_mad_u64_u32 v[8:9], null, v7, v10, 0
	v_mad_u64_u32 v[2:3], null, v6, v12, 0
	;; [unrolled: 1-line block ×3, first 2 shown]
	s_delay_alu instid0(VALU_DEP_2) | instskip(NEXT) | instid1(VALU_DEP_3)
	v_add_co_u32 v2, vcc_lo, v13, v2
	v_add_co_ci_u32_e32 v3, vcc_lo, 0, v3, vcc_lo
	s_delay_alu instid0(VALU_DEP_2) | instskip(NEXT) | instid1(VALU_DEP_2)
	v_add_co_u32 v2, vcc_lo, v2, v8
	v_add_co_ci_u32_e32 v2, vcc_lo, v3, v9, vcc_lo
	v_add_co_ci_u32_e32 v3, vcc_lo, 0, v11, vcc_lo
	s_delay_alu instid0(VALU_DEP_2) | instskip(NEXT) | instid1(VALU_DEP_2)
	v_add_co_u32 v8, vcc_lo, v2, v10
	v_add_co_ci_u32_e32 v9, vcc_lo, 0, v3, vcc_lo
	s_delay_alu instid0(VALU_DEP_2) | instskip(SKIP_1) | instid1(VALU_DEP_3)
	v_mul_lo_u32 v10, s29, v8
	v_mad_u64_u32 v[2:3], null, s28, v8, 0
	v_mul_lo_u32 v11, s28, v9
	s_delay_alu instid0(VALU_DEP_2) | instskip(NEXT) | instid1(VALU_DEP_2)
	v_sub_co_u32 v2, vcc_lo, v6, v2
	v_add3_u32 v3, v3, v11, v10
	s_delay_alu instid0(VALU_DEP_1) | instskip(NEXT) | instid1(VALU_DEP_1)
	v_sub_nc_u32_e32 v10, v7, v3
	v_subrev_co_ci_u32_e64 v10, s2, s29, v10, vcc_lo
	v_add_co_u32 v11, s2, v8, 2
	s_delay_alu instid0(VALU_DEP_1) | instskip(SKIP_3) | instid1(VALU_DEP_3)
	v_add_co_ci_u32_e64 v12, s2, 0, v9, s2
	v_sub_co_u32 v13, s2, v2, s28
	v_sub_co_ci_u32_e32 v3, vcc_lo, v7, v3, vcc_lo
	v_subrev_co_ci_u32_e64 v10, s2, 0, v10, s2
	v_cmp_le_u32_e32 vcc_lo, s28, v13
	s_delay_alu instid0(VALU_DEP_3) | instskip(SKIP_1) | instid1(VALU_DEP_4)
	v_cmp_eq_u32_e64 s2, s29, v3
	v_cndmask_b32_e64 v13, 0, -1, vcc_lo
	v_cmp_le_u32_e32 vcc_lo, s29, v10
	v_cndmask_b32_e64 v14, 0, -1, vcc_lo
	v_cmp_le_u32_e32 vcc_lo, s28, v2
	;; [unrolled: 2-line block ×3, first 2 shown]
	v_cndmask_b32_e64 v15, 0, -1, vcc_lo
	v_cmp_eq_u32_e32 vcc_lo, s29, v10
	s_delay_alu instid0(VALU_DEP_2) | instskip(SKIP_3) | instid1(VALU_DEP_3)
	v_cndmask_b32_e64 v2, v15, v2, s2
	v_cndmask_b32_e32 v10, v14, v13, vcc_lo
	v_add_co_u32 v13, vcc_lo, v8, 1
	v_add_co_ci_u32_e32 v14, vcc_lo, 0, v9, vcc_lo
	v_cmp_ne_u32_e32 vcc_lo, 0, v10
	s_delay_alu instid0(VALU_DEP_2) | instskip(SKIP_1) | instid1(VALU_DEP_2)
	v_dual_cndmask_b32 v3, v14, v12 :: v_dual_cndmask_b32 v10, v13, v11
	v_cmp_ne_u32_e32 vcc_lo, 0, v2
	v_dual_cndmask_b32 v31, v9, v3 :: v_dual_cndmask_b32 v30, v8, v10
.LBB0_4:                                ;   in Loop: Header=BB0_2 Depth=1
	s_and_not1_saveexec_b32 s2, s3
	s_cbranch_execz .LBB0_6
; %bb.5:                                ;   in Loop: Header=BB0_2 Depth=1
	v_cvt_f32_u32_e32 v2, s28
	s_sub_i32 s3, 0, s28
	v_mov_b32_e32 v31, v1
	s_delay_alu instid0(VALU_DEP_2) | instskip(SKIP_2) | instid1(VALU_DEP_1)
	v_rcp_iflag_f32_e32 v2, v2
	s_waitcnt_depctr 0xfff
	v_mul_f32_e32 v2, 0x4f7ffffe, v2
	v_cvt_u32_f32_e32 v2, v2
	s_delay_alu instid0(VALU_DEP_1) | instskip(NEXT) | instid1(VALU_DEP_1)
	v_mul_lo_u32 v3, s3, v2
	v_mul_hi_u32 v3, v2, v3
	s_delay_alu instid0(VALU_DEP_1) | instskip(NEXT) | instid1(VALU_DEP_1)
	v_add_nc_u32_e32 v2, v2, v3
	v_mul_hi_u32 v2, v6, v2
	s_delay_alu instid0(VALU_DEP_1) | instskip(SKIP_1) | instid1(VALU_DEP_2)
	v_mul_lo_u32 v3, v2, s28
	v_add_nc_u32_e32 v8, 1, v2
	v_sub_nc_u32_e32 v3, v6, v3
	s_delay_alu instid0(VALU_DEP_1) | instskip(SKIP_1) | instid1(VALU_DEP_2)
	v_subrev_nc_u32_e32 v9, s28, v3
	v_cmp_le_u32_e32 vcc_lo, s28, v3
	v_dual_cndmask_b32 v3, v3, v9 :: v_dual_cndmask_b32 v2, v2, v8
	s_delay_alu instid0(VALU_DEP_1) | instskip(NEXT) | instid1(VALU_DEP_2)
	v_cmp_le_u32_e32 vcc_lo, s28, v3
	v_add_nc_u32_e32 v8, 1, v2
	s_delay_alu instid0(VALU_DEP_1)
	v_cndmask_b32_e32 v30, v2, v8, vcc_lo
.LBB0_6:                                ;   in Loop: Header=BB0_2 Depth=1
	s_or_b32 exec_lo, exec_lo, s2
	s_delay_alu instid0(VALU_DEP_1) | instskip(NEXT) | instid1(VALU_DEP_2)
	v_mul_lo_u32 v8, v31, s28
	v_mul_lo_u32 v9, v30, s29
	s_load_b64 s[2:3], s[22:23], 0x0
	v_mad_u64_u32 v[2:3], null, v30, s28, 0
	s_load_b64 s[28:29], s[14:15], 0x0
	s_add_u32 s26, s26, 1
	s_addc_u32 s27, s27, 0
	s_add_u32 s14, s14, 8
	s_addc_u32 s15, s15, 0
	s_add_u32 s22, s22, 8
	s_delay_alu instid0(VALU_DEP_1) | instskip(SKIP_3) | instid1(VALU_DEP_2)
	v_add3_u32 v3, v3, v9, v8
	v_sub_co_u32 v8, vcc_lo, v6, v2
	s_addc_u32 s23, s23, 0
	s_add_u32 s24, s24, 8
	v_sub_co_ci_u32_e32 v6, vcc_lo, v7, v3, vcc_lo
	s_addc_u32 s25, s25, 0
	s_waitcnt lgkmcnt(0)
	s_delay_alu instid0(VALU_DEP_1)
	v_mul_lo_u32 v9, s2, v6
	v_mul_lo_u32 v10, s3, v8
	v_mad_u64_u32 v[2:3], null, s2, v8, v[4:5]
	v_mul_lo_u32 v11, s28, v6
	v_mul_lo_u32 v12, s29, v8
	v_mad_u64_u32 v[6:7], null, s28, v8, v[28:29]
	v_cmp_ge_u64_e64 s2, s[26:27], s[10:11]
	v_add3_u32 v5, v10, v3, v9
	v_mov_b32_e32 v4, v2
	s_delay_alu instid0(VALU_DEP_4)
	v_add3_u32 v29, v12, v7, v11
	v_mov_b32_e32 v28, v6
	s_and_b32 vcc_lo, exec_lo, s2
	s_cbranch_vccnz .LBB0_8
; %bb.7:                                ;   in Loop: Header=BB0_2 Depth=1
	v_dual_mov_b32 v6, v30 :: v_dual_mov_b32 v7, v31
	s_branch .LBB0_2
.LBB0_8:
	s_load_b64 s[0:1], s[0:1], 0x28
	v_mul_hi_u32 v1, 0x539782a, v0
	s_lshl_b64 s[2:3], s[10:11], 3
                                        ; implicit-def: $vgpr34
	s_delay_alu instid0(SALU_CYCLE_1) | instskip(SKIP_4) | instid1(VALU_DEP_1)
	s_add_u32 s26, s18, s2
	s_addc_u32 s27, s19, s3
	s_waitcnt lgkmcnt(0)
	v_cmp_gt_u64_e32 vcc_lo, s[0:1], v[30:31]
	v_cmp_le_u64_e64 s0, s[0:1], v[30:31]
                                        ; implicit-def: $sgpr1
	s_and_saveexec_b32 s10, s0
	s_delay_alu instid0(SALU_CYCLE_1)
	s_xor_b32 s0, exec_lo, s10
; %bb.9:
	v_mul_u32_u24_e32 v1, 49, v1
	s_mov_b32 s1, 0
                                        ; implicit-def: $vgpr4_vgpr5
	s_delay_alu instid0(VALU_DEP_1)
	v_sub_nc_u32_e32 v34, v0, v1
                                        ; implicit-def: $vgpr1
                                        ; implicit-def: $vgpr0
; %bb.10:
	s_or_saveexec_b32 s10, s0
	v_mov_b32_e32 v33, s1
                                        ; implicit-def: $vgpr18_vgpr19
                                        ; implicit-def: $vgpr26_vgpr27
                                        ; implicit-def: $vgpr14_vgpr15
                                        ; implicit-def: $vgpr10_vgpr11
                                        ; implicit-def: $vgpr22_vgpr23
                                        ; implicit-def: $vgpr6_vgpr7
                                        ; implicit-def: $vgpr2_vgpr3
	s_xor_b32 exec_lo, exec_lo, s10
	s_cbranch_execz .LBB0_12
; %bb.11:
	s_add_u32 s0, s16, s2
	s_addc_u32 s1, s17, s3
	v_mul_u32_u24_e32 v1, 49, v1
	s_load_b64 s[0:1], s[0:1], 0x0
	v_lshlrev_b64 v[2:3], 4, v[4:5]
	s_delay_alu instid0(VALU_DEP_2) | instskip(NEXT) | instid1(VALU_DEP_1)
	v_sub_nc_u32_e32 v34, v0, v1
	v_mad_u64_u32 v[0:1], null, s20, v34, 0
	v_add_nc_u32_e32 v19, 0x93, v34
	v_add_nc_u32_e32 v23, 0xf5, v34
	v_dual_mov_b32 v33, v34 :: v_dual_add_nc_u32 v24, 0x126, v34
	s_delay_alu instid0(VALU_DEP_4)
	v_mad_u64_u32 v[10:11], null, s21, v34, v[1:2]
	v_add_nc_u32_e32 v18, 0x62, v34
	s_waitcnt lgkmcnt(0)
	v_mul_lo_u32 v13, s1, v30
	v_mul_lo_u32 v14, s0, v31
	v_mad_u64_u32 v[4:5], null, s0, v30, 0
	v_mad_u64_u32 v[11:12], null, s20, v19, 0
	v_mov_b32_e32 v1, v10
	v_add_nc_u32_e32 v17, 49, v34
	v_mad_u64_u32 v[8:9], null, s20, v18, 0
	v_add3_u32 v5, v5, v14, v13
	s_delay_alu instid0(VALU_DEP_4) | instskip(NEXT) | instid1(VALU_DEP_4)
	v_lshlrev_b64 v[0:1], 4, v[0:1]
	v_mad_u64_u32 v[6:7], null, s20, v17, 0
	s_delay_alu instid0(VALU_DEP_3) | instskip(NEXT) | instid1(VALU_DEP_2)
	v_lshlrev_b64 v[4:5], 4, v[4:5]
	v_mad_u64_u32 v[15:16], null, s21, v17, v[7:8]
	s_delay_alu instid0(VALU_DEP_2) | instskip(SKIP_1) | instid1(VALU_DEP_4)
	v_add_co_u32 v4, s0, s4, v4
	v_add_nc_u32_e32 v20, 0xc4, v34
	v_add_co_ci_u32_e64 v5, s0, s5, v5, s0
	v_mad_u64_u32 v[16:17], null, s21, v18, v[9:10]
	v_mov_b32_e32 v7, v15
	v_add_co_u32 v21, s0, v4, v2
	v_mad_u64_u32 v[13:14], null, s20, v20, 0
	v_add_co_ci_u32_e64 v22, s0, v5, v3, s0
	s_delay_alu instid0(VALU_DEP_4) | instskip(NEXT) | instid1(VALU_DEP_4)
	v_lshlrev_b64 v[2:3], 4, v[6:7]
	v_add_co_u32 v0, s0, v21, v0
	s_delay_alu instid0(VALU_DEP_1) | instskip(SKIP_3) | instid1(VALU_DEP_1)
	v_add_co_ci_u32_e64 v1, s0, v22, v1, s0
	v_mov_b32_e32 v9, v16
	v_mad_u64_u32 v[15:16], null, s20, v23, 0
	v_add_co_u32 v4, s0, v21, v2
	v_add_co_ci_u32_e64 v5, s0, v22, v3, s0
	v_dual_mov_b32 v2, v12 :: v_dual_mov_b32 v3, v14
	s_delay_alu instid0(VALU_DEP_4) | instskip(SKIP_1) | instid1(VALU_DEP_3)
	v_mov_b32_e32 v10, v16
	v_lshlrev_b64 v[8:9], 4, v[8:9]
	v_mad_u64_u32 v[17:18], null, s21, v19, v[2:3]
	v_mad_u64_u32 v[18:19], null, s21, v20, v[3:4]
	;; [unrolled: 1-line block ×3, first 2 shown]
	s_delay_alu instid0(VALU_DEP_4) | instskip(NEXT) | instid1(VALU_DEP_4)
	v_add_co_u32 v8, s0, v21, v8
	v_mov_b32_e32 v12, v17
	v_mad_u64_u32 v[16:17], null, s21, v23, v[10:11]
	v_mov_b32_e32 v14, v18
	v_mov_b32_e32 v10, v20
	s_delay_alu instid0(VALU_DEP_4) | instskip(SKIP_1) | instid1(VALU_DEP_4)
	v_lshlrev_b64 v[11:12], 4, v[11:12]
	v_add_co_ci_u32_e64 v9, s0, v22, v9, s0
	v_lshlrev_b64 v[13:14], 4, v[13:14]
	v_lshlrev_b64 v[15:16], 4, v[15:16]
	s_clause 0x1
	global_load_b128 v[0:3], v[0:1], off
	global_load_b128 v[4:7], v[4:5], off
	v_mad_u64_u32 v[17:18], null, s21, v24, v[10:11]
	v_add_co_u32 v10, s0, v21, v11
	s_delay_alu instid0(VALU_DEP_1) | instskip(SKIP_1) | instid1(VALU_DEP_4)
	v_add_co_ci_u32_e64 v11, s0, v22, v12, s0
	v_add_co_u32 v12, s0, v21, v13
	v_mov_b32_e32 v20, v17
	v_add_co_ci_u32_e64 v13, s0, v22, v14, s0
	v_add_co_u32 v24, s0, v21, v15
	s_delay_alu instid0(VALU_DEP_3) | instskip(SKIP_1) | instid1(VALU_DEP_2)
	v_lshlrev_b64 v[17:18], 4, v[19:20]
	v_add_co_ci_u32_e64 v25, s0, v22, v16, s0
	v_add_co_u32 v16, s0, v21, v17
	s_delay_alu instid0(VALU_DEP_1)
	v_add_co_ci_u32_e64 v17, s0, v22, v18, s0
	s_clause 0x4
	global_load_b128 v[20:23], v[8:9], off
	global_load_b128 v[8:11], v[10:11], off
	;; [unrolled: 1-line block ×5, first 2 shown]
.LBB0_12:
	s_or_b32 exec_lo, exec_lo, s10
	s_waitcnt vmcnt(0)
	v_add_f64 v[35:36], v[16:17], v[4:5]
	v_add_f64 v[37:38], v[24:25], v[20:21]
	;; [unrolled: 1-line block ×4, first 2 shown]
	v_add_f64 v[22:23], v[22:23], -v[26:27]
	v_add_f64 v[26:27], v[12:13], v[8:9]
	v_add_f64 v[43:44], v[14:15], -v[10:11]
	v_add_f64 v[6:7], v[6:7], -v[18:19]
	;; [unrolled: 1-line block ×3, first 2 shown]
	v_add_f64 v[10:11], v[14:15], v[10:11]
	v_add_f64 v[8:9], v[12:13], -v[8:9]
	v_add_f64 v[4:5], v[4:5], -v[16:17]
	s_mov_b32 s22, 0x37e14327
	s_mov_b32 s24, 0xe976ee23
	;; [unrolled: 1-line block ×20, first 2 shown]
	s_load_b64 s[26:27], s[26:27], 0x0
	v_add_f64 v[18:19], v[37:38], v[35:36]
	v_add_f64 v[12:13], v[41:42], v[39:40]
	v_add_f64 v[14:15], v[35:36], -v[26:27]
	v_add_f64 v[16:17], v[43:44], -v[22:23]
	;; [unrolled: 1-line block ×3, first 2 shown]
	v_add_f64 v[22:23], v[43:44], v[22:23]
	v_add_f64 v[45:46], v[39:40], -v[10:11]
	v_add_f64 v[47:48], v[8:9], -v[20:21]
	;; [unrolled: 1-line block ×5, first 2 shown]
	v_add_f64 v[20:21], v[8:9], v[20:21]
	v_add_f64 v[8:9], v[4:5], -v[8:9]
	v_add_f64 v[18:19], v[26:27], v[18:19]
	v_add_f64 v[26:27], v[26:27], -v[37:38]
	;; [unrolled: 2-line block ×3, first 2 shown]
	v_mul_f64 v[14:15], v[14:15], s[22:23]
	v_mul_f64 v[16:17], v[16:17], s[24:25]
	;; [unrolled: 1-line block ×3, first 2 shown]
	v_add_f64 v[6:7], v[22:23], v[6:7]
	v_mul_f64 v[45:46], v[45:46], s[22:23]
	v_mul_f64 v[47:48], v[47:48], s[24:25]
	;; [unrolled: 1-line block ×3, first 2 shown]
	v_add_f64 v[4:5], v[20:21], v[4:5]
	v_add_f64 v[0:1], v[0:1], v[18:19]
	v_mul_f64 v[37:38], v[26:27], s[2:3]
	v_add_f64 v[55:56], v[2:3], v[12:13]
	v_add_f64 v[2:3], v[41:42], -v[39:40]
	v_mul_f64 v[39:40], v[10:11], s[2:3]
	v_fma_f64 v[22:23], v[26:27], s[2:3], v[14:15]
	v_fma_f64 v[26:27], v[43:44], s[18:19], v[16:17]
	v_fma_f64 v[16:17], v[24:25], s[0:1], -v[16:17]
	v_fma_f64 v[24:25], v[43:44], s[20:21], -v[51:52]
	;; [unrolled: 1-line block ×3, first 2 shown]
	v_fma_f64 v[10:11], v[10:11], s[2:3], v[45:46]
	v_fma_f64 v[20:21], v[8:9], s[18:19], v[47:48]
	v_fma_f64 v[8:9], v[8:9], s[20:21], -v[53:54]
	v_fma_f64 v[18:19], v[18:19], s[4:5], v[0:1]
	v_fma_f64 v[35:36], v[35:36], s[10:11], -v[37:38]
	v_fma_f64 v[37:38], v[49:50], s[0:1], -v[47:48]
	v_fma_f64 v[12:13], v[12:13], s[4:5], v[55:56]
	v_fma_f64 v[41:42], v[2:3], s[16:17], -v[45:46]
	v_fma_f64 v[2:3], v[2:3], s[10:11], -v[39:40]
	v_fma_f64 v[26:27], v[6:7], s[14:15], v[26:27]
	v_fma_f64 v[16:17], v[6:7], s[14:15], v[16:17]
	;; [unrolled: 1-line block ×3, first 2 shown]
	v_and_b32_e32 v24, 0xff, v34
	v_fma_f64 v[20:21], v[4:5], s[14:15], v[20:21]
	v_add_f64 v[22:23], v[22:23], v[18:19]
	v_add_f64 v[14:15], v[14:15], v[18:19]
	;; [unrolled: 1-line block ×3, first 2 shown]
	v_mul_lo_u16 v35, v24, 37
	v_fma_f64 v[24:25], v[4:5], s[14:15], v[37:38]
	v_fma_f64 v[4:5], v[4:5], s[14:15], v[8:9]
	v_add_f64 v[8:9], v[10:11], v[12:13]
	v_add_f64 v[10:11], v[41:42], v[12:13]
	;; [unrolled: 1-line block ×3, first 2 shown]
	v_lshrrev_b16 v12, 8, v35
	v_mul_hi_u32 v13, 0xcccccccd, v32
	s_delay_alu instid0(VALU_DEP_2) | instskip(NEXT) | instid1(VALU_DEP_2)
	v_sub_nc_u16 v35, v34, v12
	v_lshrrev_b32_e32 v13, 2, v13
	s_delay_alu instid0(VALU_DEP_2) | instskip(NEXT) | instid1(VALU_DEP_2)
	v_lshrrev_b16 v35, 1, v35
	v_lshl_add_u32 v13, v13, 2, v13
	s_delay_alu instid0(VALU_DEP_2) | instskip(NEXT) | instid1(VALU_DEP_2)
	v_and_b32_e32 v35, 0x7f, v35
	v_sub_nc_u32_e32 v32, v32, v13
	s_delay_alu instid0(VALU_DEP_2)
	v_add_nc_u16 v39, v35, v12
	v_add_f64 v[12:13], v[26:27], v[22:23]
	v_add_f64 v[22:23], v[22:23], -v[26:27]
	v_add_f64 v[35:36], v[6:7], v[14:15]
	v_add_f64 v[37:38], v[18:19], -v[16:17]
	v_add_f64 v[6:7], v[14:15], -v[6:7]
	v_mul_u32_u24_e32 v14, 0x157, v32
	v_add_f64 v[26:27], v[8:9], -v[20:21]
	v_lshrrev_b16 v32, 2, v39
	v_add_f64 v[39:40], v[10:11], -v[4:5]
	v_add_f64 v[41:42], v[24:25], v[2:3]
	v_add_f64 v[17:18], v[16:17], v[18:19]
	v_add_f64 v[24:25], v[2:3], -v[24:25]
	v_add_f64 v[43:44], v[4:5], v[10:11]
	v_add_f64 v[19:20], v[20:21], v[8:9]
	v_lshlrev_b32_e32 v73, 3, v14
	v_mul_lo_u16 v14, v32, 7
	s_delay_alu instid0(VALU_DEP_2) | instskip(NEXT) | instid1(VALU_DEP_2)
	v_add_nc_u32_e32 v2, 0, v73
	v_sub_nc_u16 v3, v34, v14
	s_delay_alu instid0(VALU_DEP_2) | instskip(NEXT) | instid1(VALU_DEP_2)
	v_mad_u32_u24 v21, v34, 56, v2
	v_and_b32_e32 v74, 0xff, v3
	v_lshl_add_u32 v14, v34, 3, v2
	ds_store_2addr_b64 v21, v[0:1], v[12:13] offset1:1
	ds_store_2addr_b64 v21, v[35:36], v[37:38] offset0:2 offset1:3
	ds_store_2addr_b64 v21, v[17:18], v[6:7] offset0:4 offset1:5
	ds_store_b64 v21, v[22:23] offset:48
	v_mul_u32_u24_e32 v3, 6, v74
	v_mad_i32_i24 v15, 0xffffffd0, v34, v21
	s_waitcnt lgkmcnt(0)
	s_barrier
	buffer_gl0_inv
	v_lshlrev_b32_e32 v47, 4, v3
	v_add_nc_u32_e32 v16, 0x400, v15
	ds_load_b64 v[12:13], v14
	ds_load_2addr_b64 v[0:3], v15 offset0:49 offset1:98
	ds_load_2addr_b64 v[4:7], v15 offset0:147 offset1:196
	;; [unrolled: 1-line block ×3, first 2 shown]
	s_waitcnt lgkmcnt(0)
	s_barrier
	buffer_gl0_inv
	ds_store_2addr_b64 v21, v[55:56], v[26:27] offset1:1
	ds_store_2addr_b64 v21, v[39:40], v[41:42] offset0:2 offset1:3
	ds_store_2addr_b64 v21, v[24:25], v[43:44] offset0:4 offset1:5
	ds_store_b64 v21, v[19:20] offset:48
	s_waitcnt lgkmcnt(0)
	s_barrier
	buffer_gl0_inv
	s_clause 0x5
	global_load_b128 v[17:20], v47, s[8:9]
	global_load_b128 v[21:24], v47, s[8:9] offset:16
	global_load_b128 v[35:38], v47, s[8:9] offset:80
	;; [unrolled: 1-line block ×5, first 2 shown]
	ds_load_2addr_b64 v[51:54], v15 offset0:49 offset1:98
	ds_load_2addr_b64 v[55:58], v16 offset0:117 offset1:166
	;; [unrolled: 1-line block ×3, first 2 shown]
	v_and_b32_e32 v27, 0xffff, v32
	s_waitcnt vmcnt(5) lgkmcnt(2)
	v_mul_f64 v[25:26], v[51:52], v[19:20]
	s_waitcnt vmcnt(4)
	v_mul_f64 v[63:64], v[53:54], v[23:24]
	s_waitcnt vmcnt(3) lgkmcnt(1)
	v_mul_f64 v[65:66], v[57:58], v[37:38]
	s_waitcnt vmcnt(2)
	v_mul_f64 v[67:68], v[55:56], v[41:42]
	v_mul_f64 v[19:20], v[0:1], v[19:20]
	;; [unrolled: 1-line block ×5, first 2 shown]
	s_waitcnt vmcnt(1) lgkmcnt(0)
	v_mul_f64 v[69:70], v[59:60], v[45:46]
	v_mul_f64 v[45:46], v[4:5], v[45:46]
	s_waitcnt vmcnt(0)
	v_mul_f64 v[71:72], v[61:62], v[49:50]
	v_mul_f64 v[49:50], v[6:7], v[49:50]
	v_fma_f64 v[0:1], v[0:1], v[17:18], v[25:26]
	v_fma_f64 v[2:3], v[2:3], v[21:22], v[63:64]
	;; [unrolled: 1-line block ×4, first 2 shown]
	v_fma_f64 v[17:18], v[51:52], v[17:18], -v[19:20]
	v_fma_f64 v[19:20], v[53:54], v[21:22], -v[23:24]
	v_fma_f64 v[21:22], v[57:58], v[35:36], -v[37:38]
	v_fma_f64 v[23:24], v[55:56], v[39:40], -v[41:42]
	v_fma_f64 v[4:5], v[4:5], v[43:44], v[69:70]
	v_fma_f64 v[25:26], v[59:60], v[43:44], -v[45:46]
	v_fma_f64 v[6:7], v[6:7], v[47:48], v[71:72]
	v_fma_f64 v[35:36], v[61:62], v[47:48], -v[49:50]
	ds_load_b64 v[55:56], v14
	s_waitcnt lgkmcnt(0)
	s_barrier
	buffer_gl0_inv
	v_add_f64 v[37:38], v[0:1], v[10:11]
	v_add_f64 v[39:40], v[2:3], v[8:9]
	v_add_f64 v[2:3], v[2:3], -v[8:9]
	v_add_f64 v[0:1], v[0:1], -v[10:11]
	v_add_f64 v[41:42], v[17:18], v[21:22]
	v_add_f64 v[43:44], v[19:20], v[23:24]
	v_add_f64 v[19:20], v[19:20], -v[23:24]
	v_add_f64 v[17:18], v[17:18], -v[21:22]
	v_add_f64 v[23:24], v[4:5], v[6:7]
	v_add_f64 v[45:46], v[35:36], -v[25:26]
	v_add_f64 v[8:9], v[25:26], v[35:36]
	;; [unrolled: 2-line block ×4, first 2 shown]
	v_add_f64 v[35:36], v[19:20], -v[17:18]
	v_add_f64 v[10:11], v[37:38], -v[23:24]
	v_add_f64 v[25:26], v[45:46], -v[19:20]
	v_add_f64 v[47:48], v[41:42], -v[8:9]
	v_add_f64 v[49:50], v[4:5], -v[2:3]
	v_add_f64 v[19:20], v[45:46], v[19:20]
	v_add_f64 v[45:46], v[17:18], -v[45:46]
	v_add_f64 v[37:38], v[39:40], -v[37:38]
	v_add_f64 v[2:3], v[4:5], v[2:3]
	v_add_f64 v[4:5], v[0:1], -v[4:5]
	v_add_f64 v[41:42], v[43:44], -v[41:42]
	v_add_f64 v[21:22], v[23:24], v[21:22]
	v_add_f64 v[23:24], v[23:24], -v[39:40]
	v_mul_f64 v[57:58], v[51:52], s[0:1]
	v_add_f64 v[6:7], v[8:9], v[6:7]
	v_add_f64 v[8:9], v[8:9], -v[43:44]
	v_mul_f64 v[53:54], v[35:36], s[0:1]
	v_mul_f64 v[10:11], v[10:11], s[22:23]
	;; [unrolled: 1-line block ×5, first 2 shown]
	v_add_f64 v[17:18], v[19:20], v[17:18]
	v_add_f64 v[0:1], v[2:3], v[0:1]
	;; [unrolled: 1-line block ×3, first 2 shown]
	v_mul_f64 v[39:40], v[23:24], s[2:3]
	v_add_f64 v[55:56], v[55:56], v[6:7]
	v_mul_f64 v[43:44], v[8:9], s[2:3]
	v_fma_f64 v[19:20], v[23:24], s[2:3], v[10:11]
	v_fma_f64 v[23:24], v[45:46], s[18:19], v[25:26]
	v_fma_f64 v[25:26], v[35:36], s[0:1], -v[25:26]
	v_fma_f64 v[35:36], v[45:46], s[20:21], -v[53:54]
	;; [unrolled: 1-line block ×3, first 2 shown]
	v_fma_f64 v[2:3], v[8:9], s[2:3], v[47:48]
	v_fma_f64 v[8:9], v[4:5], s[18:19], v[49:50]
	v_fma_f64 v[4:5], v[4:5], s[20:21], -v[57:58]
	v_fma_f64 v[45:46], v[41:42], s[16:17], -v[47:48]
	v_fma_f64 v[21:22], v[21:22], s[4:5], v[12:13]
	v_fma_f64 v[37:38], v[37:38], s[10:11], -v[39:40]
	v_fma_f64 v[39:40], v[51:52], s[0:1], -v[49:50]
	v_fma_f64 v[6:7], v[6:7], s[4:5], v[55:56]
	v_fma_f64 v[41:42], v[41:42], s[10:11], -v[43:44]
	v_fma_f64 v[23:24], v[17:18], s[14:15], v[23:24]
	v_fma_f64 v[25:26], v[17:18], s[14:15], v[25:26]
	;; [unrolled: 1-line block ×4, first 2 shown]
	v_add_f64 v[19:20], v[19:20], v[21:22]
	v_add_f64 v[10:11], v[10:11], v[21:22]
	;; [unrolled: 1-line block ×3, first 2 shown]
	v_fma_f64 v[35:36], v[0:1], s[14:15], v[39:40]
	v_add_f64 v[2:3], v[2:3], v[6:7]
	v_fma_f64 v[0:1], v[0:1], s[14:15], v[4:5]
	v_add_f64 v[4:5], v[45:46], v[6:7]
	v_add_f64 v[6:7], v[41:42], v[6:7]
	;; [unrolled: 1-line block ×4, first 2 shown]
	v_add_f64 v[41:42], v[21:22], -v[25:26]
	v_add_f64 v[21:22], v[25:26], v[21:22]
	v_add_f64 v[10:11], v[10:11], -v[17:18]
	v_add_f64 v[17:18], v[19:20], -v[23:24]
	;; [unrolled: 1-line block ×4, first 2 shown]
	v_add_f64 v[25:26], v[35:36], v[6:7]
	v_add_f64 v[35:36], v[6:7], -v[35:36]
	v_add_f64 v[43:44], v[0:1], v[4:5]
	v_add_f64 v[45:46], v[8:9], v[2:3]
	v_mad_u32_u24 v0, 0x188, v27, 0
	v_lshlrev_b32_e32 v1, 3, v74
	s_delay_alu instid0(VALU_DEP_1)
	v_add3_u32 v27, v0, v1, v73
	ds_store_2addr_b64 v27, v[12:13], v[37:38] offset1:7
	ds_store_2addr_b64 v27, v[39:40], v[41:42] offset0:14 offset1:21
	ds_store_2addr_b64 v27, v[21:22], v[10:11] offset0:28 offset1:35
	ds_store_b64 v27, v[17:18] offset:336
	s_waitcnt lgkmcnt(0)
	s_barrier
	buffer_gl0_inv
	ds_load_b64 v[12:13], v14
	ds_load_2addr_b64 v[4:7], v15 offset0:49 offset1:98
	ds_load_2addr_b64 v[0:3], v15 offset0:147 offset1:196
	;; [unrolled: 1-line block ×3, first 2 shown]
	s_waitcnt lgkmcnt(0)
	s_barrier
	buffer_gl0_inv
	ds_store_2addr_b64 v27, v[55:56], v[19:20] offset1:7
	ds_store_2addr_b64 v27, v[23:24], v[25:26] offset0:14 offset1:21
	ds_store_2addr_b64 v27, v[35:36], v[43:44] offset0:28 offset1:35
	ds_store_b64 v27, v[45:46] offset:336
	s_waitcnt lgkmcnt(0)
	s_barrier
	buffer_gl0_inv
	s_and_saveexec_b32 s28, vcc_lo
	s_cbranch_execz .LBB0_14
; %bb.13:
	v_mul_u32_u24_e32 v17, 6, v34
	v_lshlrev_b64 v[28:29], 4, v[28:29]
	s_delay_alu instid0(VALU_DEP_2)
	v_lshlrev_b32_e32 v25, 4, v17
	s_clause 0x5
	global_load_b128 v[17:20], v25, s[8:9] offset:688
	global_load_b128 v[21:24], v25, s[8:9] offset:736
	;; [unrolled: 1-line block ×6, first 2 shown]
	s_waitcnt vmcnt(5)
	v_mul_f64 v[25:26], v[6:7], v[19:20]
	s_waitcnt vmcnt(4)
	v_mul_f64 v[50:51], v[8:9], v[23:24]
	;; [unrolled: 2-line block ×4, first 2 shown]
	v_mul_f64 v[56:57], v[6:7], v[17:18]
	v_mul_f64 v[58:59], v[8:9], v[21:22]
	;; [unrolled: 1-line block ×4, first 2 shown]
	ds_load_2addr_b64 v[4:7], v15 offset0:49 offset1:98
	ds_load_2addr_b64 v[8:11], v16 offset0:117 offset1:166
	s_waitcnt vmcnt(1)
	v_mul_f64 v[64:65], v[2:3], v[42:43]
	s_waitcnt vmcnt(0)
	v_mul_f64 v[66:67], v[0:1], v[46:47]
	v_mul_f64 v[68:69], v[0:1], v[48:49]
	;; [unrolled: 1-line block ×3, first 2 shown]
	ds_load_2addr_b64 v[0:3], v15 offset0:147 offset1:196
	s_waitcnt lgkmcnt(2)
	v_fma_f64 v[16:17], v[6:7], v[17:18], -v[25:26]
	s_waitcnt lgkmcnt(1)
	v_fma_f64 v[21:22], v[8:9], v[21:22], -v[50:51]
	v_fma_f64 v[25:26], v[4:5], v[34:35], -v[52:53]
	;; [unrolled: 1-line block ×3, first 2 shown]
	v_fma_f64 v[6:7], v[6:7], v[19:20], v[56:57]
	v_fma_f64 v[8:9], v[8:9], v[23:24], v[58:59]
	;; [unrolled: 1-line block ×4, first 2 shown]
	ds_load_b64 v[50:51], v14
	s_waitcnt lgkmcnt(1)
	v_fma_f64 v[18:19], v[2:3], v[44:45], v[64:65]
	v_fma_f64 v[23:24], v[0:1], v[48:49], v[66:67]
	v_fma_f64 v[0:1], v[0:1], v[46:47], -v[68:69]
	v_fma_f64 v[2:3], v[2:3], v[42:43], -v[70:71]
	v_add_nc_u32_e32 v65, 0x93, v33
	v_mul_lo_u32 v59, s26, v31
	v_mad_u64_u32 v[31:32], null, s26, v30, 0
	v_mul_lo_u32 v58, s27, v30
	v_add_nc_u32_e32 v67, 0xf5, v33
	v_add_nc_u32_e32 v66, 0xc4, v33
	s_delay_alu instid0(VALU_DEP_3)
	v_add3_u32 v32, v32, v59, v58
	v_add_f64 v[36:37], v[16:17], v[21:22]
	v_add_f64 v[38:39], v[25:26], v[34:35]
	;; [unrolled: 1-line block ×3, first 2 shown]
	v_add_f64 v[6:7], v[6:7], -v[8:9]
	v_add_f64 v[42:43], v[4:5], v[10:11]
	v_add_f64 v[4:5], v[4:5], -v[10:11]
	v_add_f64 v[44:45], v[18:19], -v[23:24]
	v_add_f64 v[18:19], v[18:19], v[23:24]
	v_add_f64 v[8:9], v[2:3], v[0:1]
	v_add_f64 v[0:1], v[2:3], -v[0:1]
	v_add_f64 v[2:3], v[16:17], -v[21:22]
	;; [unrolled: 1-line block ×3, first 2 shown]
	v_add_f64 v[10:11], v[36:37], v[38:39]
	v_add_f64 v[20:21], v[40:41], v[42:43]
	v_add_f64 v[34:35], v[6:7], -v[4:5]
	v_add_f64 v[22:23], v[44:45], -v[6:7]
	;; [unrolled: 1-line block ×4, first 2 shown]
	v_add_f64 v[6:7], v[44:45], v[6:7]
	v_add_f64 v[46:47], v[0:1], -v[2:3]
	v_add_f64 v[48:49], v[2:3], -v[15:16]
	;; [unrolled: 1-line block ×3, first 2 shown]
	v_add_f64 v[52:53], v[0:1], v[2:3]
	v_add_f64 v[56:57], v[15:16], -v[0:1]
	v_add_f64 v[10:11], v[8:9], v[10:11]
	v_add_f64 v[8:9], v[8:9], -v[36:37]
	v_add_f64 v[36:37], v[36:37], -v[38:39]
	v_add_f64 v[20:21], v[18:19], v[20:21]
	v_add_f64 v[17:18], v[18:19], -v[40:41]
	v_mul_f64 v[54:55], v[34:35], s[0:1]
	v_mul_f64 v[22:23], v[22:23], s[24:25]
	;; [unrolled: 1-line block ×4, first 2 shown]
	v_add_f64 v[4:5], v[6:7], v[4:5]
	v_mul_f64 v[46:47], v[46:47], s[24:25]
	v_add_f64 v[6:7], v[52:53], v[15:16]
	v_mad_u64_u32 v[52:53], null, s12, v67, 0
	v_add_nc_u32_e32 v68, 0x126, v33
	s_waitcnt lgkmcnt(0)
	v_add_f64 v[2:3], v[50:51], v[10:11]
	v_mul_f64 v[38:39], v[8:9], s[2:3]
	v_mul_f64 v[50:51], v[48:49], s[0:1]
	v_add_f64 v[0:1], v[12:13], v[20:21]
	v_add_f64 v[12:13], v[40:41], -v[42:43]
	v_mul_f64 v[40:41], v[17:18], s[2:3]
	v_fma_f64 v[14:15], v[44:45], s[18:19], v[22:23]
	v_fma_f64 v[16:17], v[17:18], s[2:3], v[26:27]
	;; [unrolled: 1-line block ×3, first 2 shown]
	v_fma_f64 v[18:19], v[44:45], s[20:21], -v[54:55]
	v_fma_f64 v[22:23], v[34:35], s[0:1], -v[22:23]
	;; [unrolled: 1-line block ×4, first 2 shown]
	v_mad_u64_u32 v[42:43], null, s12, v33, 0
	v_mad_u64_u32 v[48:49], null, s12, v65, 0
	v_add_nc_u32_e32 v64, 0x62, v33
	s_delay_alu instid0(VALU_DEP_3)
	v_mov_b32_e32 v30, v43
	v_fma_f64 v[10:11], v[10:11], s[4:5], v[2:3]
	v_fma_f64 v[34:35], v[36:37], s[10:11], -v[38:39]
	v_fma_f64 v[36:37], v[56:57], s[18:19], v[46:47]
	v_fma_f64 v[38:39], v[56:57], s[20:21], -v[50:51]
	v_fma_f64 v[20:21], v[20:21], s[4:5], v[0:1]
	v_fma_f64 v[26:27], v[12:13], s[16:17], -v[26:27]
	v_fma_f64 v[12:13], v[12:13], s[10:11], -v[40:41]
	v_mad_u64_u32 v[46:47], null, s12, v64, 0
	v_add_nc_u32_e32 v60, 49, v33
	v_mad_u64_u32 v[56:57], null, s13, v33, v[30:31]
	v_lshlrev_b64 v[30:31], 4, v[31:32]
	v_mad_u64_u32 v[50:51], null, s12, v66, 0
	v_mov_b32_e32 v33, v47
	v_mad_u64_u32 v[40:41], null, s12, v60, 0
	v_mov_b32_e32 v47, v53
	v_mad_u64_u32 v[54:55], null, s12, v68, 0
	s_delay_alu instid0(VALU_DEP_3) | instskip(SKIP_1) | instid1(VALU_DEP_3)
	v_dual_mov_b32 v43, v51 :: v_dual_mov_b32 v32, v41
	v_mov_b32_e32 v41, v49
	v_mov_b32_e32 v49, v55
	s_delay_alu instid0(VALU_DEP_3)
	v_mad_u64_u32 v[57:58], null, s13, v60, v[32:33]
	v_fma_f64 v[60:61], v[4:5], s[14:15], v[18:19]
	v_fma_f64 v[58:59], v[4:5], s[14:15], v[14:15]
	;; [unrolled: 1-line block ×3, first 2 shown]
	v_add_f64 v[8:9], v[8:9], v[10:11]
	v_add_f64 v[18:19], v[34:35], v[10:11]
	v_fma_f64 v[34:35], v[6:7], s[14:15], v[36:37]
	v_fma_f64 v[36:37], v[6:7], s[14:15], v[38:39]
	;; [unrolled: 1-line block ×3, first 2 shown]
	v_add_f64 v[44:45], v[16:17], v[20:21]
	v_add_f64 v[22:23], v[24:25], v[10:11]
	;; [unrolled: 1-line block ×4, first 2 shown]
	v_mad_u64_u32 v[10:11], null, s13, v65, v[41:42]
	v_mov_b32_e32 v41, v57
	v_add_f64 v[26:27], v[8:9], -v[58:59]
	v_mad_u64_u32 v[6:7], null, s13, v64, v[33:34]
	v_add_co_u32 v7, vcc_lo, s6, v30
	v_mad_u64_u32 v[14:15], null, s13, v66, v[43:44]
	v_mad_u64_u32 v[15:16], null, s13, v67, v[47:48]
	;; [unrolled: 1-line block ×3, first 2 shown]
	v_add_co_ci_u32_e32 v11, vcc_lo, s7, v31, vcc_lo
	v_mov_b32_e32 v43, v56
	v_add_co_u32 v56, vcc_lo, v7, v28
	v_add_f64 v[24:25], v[34:35], v[44:45]
	s_delay_alu instid0(VALU_DEP_4)
	v_add_co_ci_u32_e32 v64, vcc_lo, v11, v29, vcc_lo
	v_mov_b32_e32 v49, v10
	v_add_f64 v[10:11], v[60:61], v[22:23]
	v_add_f64 v[22:23], v[22:23], -v[60:61]
	v_add_f64 v[20:21], v[36:37], v[62:63]
	v_mov_b32_e32 v51, v14
	v_mov_b32_e32 v53, v15
	v_mov_b32_e32 v55, v16
	v_add_f64 v[14:15], v[18:19], -v[4:5]
	v_add_f64 v[18:19], v[4:5], v[18:19]
	v_add_f64 v[16:17], v[12:13], -v[38:39]
	v_add_f64 v[12:13], v[38:39], v[12:13]
	v_mov_b32_e32 v47, v6
	v_add_f64 v[6:7], v[58:59], v[8:9]
	v_add_f64 v[8:9], v[62:63], -v[36:37]
	v_add_f64 v[4:5], v[44:45], -v[34:35]
	v_lshlrev_b64 v[28:29], 4, v[42:43]
	v_lshlrev_b64 v[30:31], 4, v[40:41]
	v_lshlrev_b64 v[32:33], 4, v[46:47]
	v_lshlrev_b64 v[40:41], 4, v[48:49]
	v_lshlrev_b64 v[34:35], 4, v[50:51]
	v_lshlrev_b64 v[36:37], 4, v[52:53]
	v_add_co_u32 v28, vcc_lo, v56, v28
	v_add_co_ci_u32_e32 v29, vcc_lo, v64, v29, vcc_lo
	v_add_co_u32 v30, vcc_lo, v56, v30
	v_add_co_ci_u32_e32 v31, vcc_lo, v64, v31, vcc_lo
	;; [unrolled: 2-line block ×4, first 2 shown]
	v_lshlrev_b64 v[38:39], 4, v[54:55]
	v_add_co_u32 v34, vcc_lo, v56, v34
	v_add_co_ci_u32_e32 v35, vcc_lo, v64, v35, vcc_lo
	v_add_co_u32 v36, vcc_lo, v56, v36
	v_add_co_ci_u32_e32 v37, vcc_lo, v64, v37, vcc_lo
	;; [unrolled: 2-line block ×3, first 2 shown]
	s_clause 0x6
	global_store_b128 v[28:29], v[0:3], off
	global_store_b128 v[30:31], v[24:27], off
	;; [unrolled: 1-line block ×7, first 2 shown]
.LBB0_14:
	s_nop 0
	s_sendmsg sendmsg(MSG_DEALLOC_VGPRS)
	s_endpgm
	.section	.rodata,"a",@progbits
	.p2align	6, 0x0
	.amdhsa_kernel fft_rtc_back_len343_factors_7_7_7_wgs_245_tpt_49_halfLds_dp_op_CI_CI_sbrr_dirReg
		.amdhsa_group_segment_fixed_size 0
		.amdhsa_private_segment_fixed_size 0
		.amdhsa_kernarg_size 104
		.amdhsa_user_sgpr_count 15
		.amdhsa_user_sgpr_dispatch_ptr 0
		.amdhsa_user_sgpr_queue_ptr 0
		.amdhsa_user_sgpr_kernarg_segment_ptr 1
		.amdhsa_user_sgpr_dispatch_id 0
		.amdhsa_user_sgpr_private_segment_size 0
		.amdhsa_wavefront_size32 1
		.amdhsa_uses_dynamic_stack 0
		.amdhsa_enable_private_segment 0
		.amdhsa_system_sgpr_workgroup_id_x 1
		.amdhsa_system_sgpr_workgroup_id_y 0
		.amdhsa_system_sgpr_workgroup_id_z 0
		.amdhsa_system_sgpr_workgroup_info 0
		.amdhsa_system_vgpr_workitem_id 0
		.amdhsa_next_free_vgpr 75
		.amdhsa_next_free_sgpr 31
		.amdhsa_reserve_vcc 1
		.amdhsa_float_round_mode_32 0
		.amdhsa_float_round_mode_16_64 0
		.amdhsa_float_denorm_mode_32 3
		.amdhsa_float_denorm_mode_16_64 3
		.amdhsa_dx10_clamp 1
		.amdhsa_ieee_mode 1
		.amdhsa_fp16_overflow 0
		.amdhsa_workgroup_processor_mode 1
		.amdhsa_memory_ordered 1
		.amdhsa_forward_progress 0
		.amdhsa_shared_vgpr_count 0
		.amdhsa_exception_fp_ieee_invalid_op 0
		.amdhsa_exception_fp_denorm_src 0
		.amdhsa_exception_fp_ieee_div_zero 0
		.amdhsa_exception_fp_ieee_overflow 0
		.amdhsa_exception_fp_ieee_underflow 0
		.amdhsa_exception_fp_ieee_inexact 0
		.amdhsa_exception_int_div_zero 0
	.end_amdhsa_kernel
	.text
.Lfunc_end0:
	.size	fft_rtc_back_len343_factors_7_7_7_wgs_245_tpt_49_halfLds_dp_op_CI_CI_sbrr_dirReg, .Lfunc_end0-fft_rtc_back_len343_factors_7_7_7_wgs_245_tpt_49_halfLds_dp_op_CI_CI_sbrr_dirReg
                                        ; -- End function
	.section	.AMDGPU.csdata,"",@progbits
; Kernel info:
; codeLenInByte = 5788
; NumSgprs: 33
; NumVgprs: 75
; ScratchSize: 0
; MemoryBound: 1
; FloatMode: 240
; IeeeMode: 1
; LDSByteSize: 0 bytes/workgroup (compile time only)
; SGPRBlocks: 4
; VGPRBlocks: 9
; NumSGPRsForWavesPerEU: 33
; NumVGPRsForWavesPerEU: 75
; Occupancy: 16
; WaveLimiterHint : 1
; COMPUTE_PGM_RSRC2:SCRATCH_EN: 0
; COMPUTE_PGM_RSRC2:USER_SGPR: 15
; COMPUTE_PGM_RSRC2:TRAP_HANDLER: 0
; COMPUTE_PGM_RSRC2:TGID_X_EN: 1
; COMPUTE_PGM_RSRC2:TGID_Y_EN: 0
; COMPUTE_PGM_RSRC2:TGID_Z_EN: 0
; COMPUTE_PGM_RSRC2:TIDIG_COMP_CNT: 0
	.text
	.p2alignl 7, 3214868480
	.fill 96, 4, 3214868480
	.type	__hip_cuid_abe8f47efcf3ef6c,@object ; @__hip_cuid_abe8f47efcf3ef6c
	.section	.bss,"aw",@nobits
	.globl	__hip_cuid_abe8f47efcf3ef6c
__hip_cuid_abe8f47efcf3ef6c:
	.byte	0                               ; 0x0
	.size	__hip_cuid_abe8f47efcf3ef6c, 1

	.ident	"AMD clang version 19.0.0git (https://github.com/RadeonOpenCompute/llvm-project roc-6.4.0 25133 c7fe45cf4b819c5991fe208aaa96edf142730f1d)"
	.section	".note.GNU-stack","",@progbits
	.addrsig
	.addrsig_sym __hip_cuid_abe8f47efcf3ef6c
	.amdgpu_metadata
---
amdhsa.kernels:
  - .args:
      - .actual_access:  read_only
        .address_space:  global
        .offset:         0
        .size:           8
        .value_kind:     global_buffer
      - .offset:         8
        .size:           8
        .value_kind:     by_value
      - .actual_access:  read_only
        .address_space:  global
        .offset:         16
        .size:           8
        .value_kind:     global_buffer
      - .actual_access:  read_only
        .address_space:  global
        .offset:         24
        .size:           8
        .value_kind:     global_buffer
      - .actual_access:  read_only
        .address_space:  global
        .offset:         32
        .size:           8
        .value_kind:     global_buffer
      - .offset:         40
        .size:           8
        .value_kind:     by_value
      - .actual_access:  read_only
        .address_space:  global
        .offset:         48
        .size:           8
        .value_kind:     global_buffer
      - .actual_access:  read_only
        .address_space:  global
        .offset:         56
        .size:           8
        .value_kind:     global_buffer
      - .offset:         64
        .size:           4
        .value_kind:     by_value
      - .actual_access:  read_only
        .address_space:  global
        .offset:         72
        .size:           8
        .value_kind:     global_buffer
      - .actual_access:  read_only
        .address_space:  global
        .offset:         80
        .size:           8
        .value_kind:     global_buffer
      - .actual_access:  read_only
        .address_space:  global
        .offset:         88
        .size:           8
        .value_kind:     global_buffer
      - .actual_access:  write_only
        .address_space:  global
        .offset:         96
        .size:           8
        .value_kind:     global_buffer
    .group_segment_fixed_size: 0
    .kernarg_segment_align: 8
    .kernarg_segment_size: 104
    .language:       OpenCL C
    .language_version:
      - 2
      - 0
    .max_flat_workgroup_size: 245
    .name:           fft_rtc_back_len343_factors_7_7_7_wgs_245_tpt_49_halfLds_dp_op_CI_CI_sbrr_dirReg
    .private_segment_fixed_size: 0
    .sgpr_count:     33
    .sgpr_spill_count: 0
    .symbol:         fft_rtc_back_len343_factors_7_7_7_wgs_245_tpt_49_halfLds_dp_op_CI_CI_sbrr_dirReg.kd
    .uniform_work_group_size: 1
    .uses_dynamic_stack: false
    .vgpr_count:     75
    .vgpr_spill_count: 0
    .wavefront_size: 32
    .workgroup_processor_mode: 1
amdhsa.target:   amdgcn-amd-amdhsa--gfx1100
amdhsa.version:
  - 1
  - 2
...

	.end_amdgpu_metadata
